;; amdgpu-corpus repo=ROCm/rocFFT kind=compiled arch=gfx1201 opt=O3
	.text
	.amdgcn_target "amdgcn-amd-amdhsa--gfx1201"
	.amdhsa_code_object_version 6
	.protected	fft_rtc_back_len256_factors_4_4_4_4_wgs_256_tpt_32_dp_op_CI_CI_sbrc_xy_z_aligned_dirReg ; -- Begin function fft_rtc_back_len256_factors_4_4_4_4_wgs_256_tpt_32_dp_op_CI_CI_sbrc_xy_z_aligned_dirReg
	.globl	fft_rtc_back_len256_factors_4_4_4_4_wgs_256_tpt_32_dp_op_CI_CI_sbrc_xy_z_aligned_dirReg
	.p2align	8
	.type	fft_rtc_back_len256_factors_4_4_4_4_wgs_256_tpt_32_dp_op_CI_CI_sbrc_xy_z_aligned_dirReg,@function
fft_rtc_back_len256_factors_4_4_4_4_wgs_256_tpt_32_dp_op_CI_CI_sbrc_xy_z_aligned_dirReg: ; @fft_rtc_back_len256_factors_4_4_4_4_wgs_256_tpt_32_dp_op_CI_CI_sbrc_xy_z_aligned_dirReg
; %bb.0:
	s_clause 0x2
	s_load_b128 s[16:19], s[0:1], 0x10
	s_load_b64 s[24:25], s[0:1], 0x0
	s_load_b64 s[26:27], s[0:1], 0x20
	s_mov_b32 s2, ttmp9
	s_mov_b64 s[30:31], 0
	s_wait_kmcnt 0x0
	s_load_b128 s[20:23], s[16:17], 0x8
	s_clause 0x1
	s_load_b128 s[12:15], s[18:19], 0x0
	s_load_b64 s[28:29], s[18:19], 0x10
	s_wait_kmcnt 0x0
	s_add_co_i32 s3, s22, -1
	s_delay_alu instid0(SALU_CYCLE_1) | instskip(NEXT) | instid1(SALU_CYCLE_1)
	s_lshr_b32 s3, s3, 3
	s_add_co_i32 s3, s3, 1
	s_delay_alu instid0(SALU_CYCLE_1) | instskip(NEXT) | instid1(SALU_CYCLE_1)
	s_mul_i32 s8, s3, s20
	s_cvt_f32_u32 s3, s8
	s_sub_co_i32 s4, 0, s8
	s_delay_alu instid0(SALU_CYCLE_2) | instskip(NEXT) | instid1(TRANS32_DEP_1)
	v_rcp_iflag_f32_e32 v1, s3
	v_readfirstlane_b32 s3, v1
	v_cvt_f32_u32_e32 v1, s20
	s_delay_alu instid0(VALU_DEP_2) | instskip(SKIP_1) | instid1(SALU_CYCLE_2)
	s_mul_f32 s3, s3, 0x4f7ffffe
	s_wait_alu 0xfffe
	s_cvt_u32_f32 s3, s3
	s_wait_alu 0xfffe
	s_delay_alu instid0(SALU_CYCLE_2) | instskip(NEXT) | instid1(SALU_CYCLE_1)
	s_mul_i32 s4, s4, s3
	s_mul_hi_u32 s4, s3, s4
	s_delay_alu instid0(SALU_CYCLE_1)
	s_add_co_i32 s3, s3, s4
	s_wait_alu 0xfffe
	s_mul_hi_u32 s3, ttmp9, s3
	s_wait_alu 0xfffe
	s_mul_i32 s4, s3, s8
	s_add_co_i32 s10, s3, 1
	s_sub_co_i32 s9, ttmp9, s4
	s_clause 0x1
	s_load_b128 s[4:7], s[26:27], 0x0
	s_load_b64 s[22:23], s[26:27], 0x10
	s_sub_co_i32 s11, s9, s8
	s_cmp_ge_u32 s9, s8
	s_cselect_b32 s3, s10, s3
	s_wait_kmcnt 0x0
	s_cselect_b32 s7, s11, s9
	s_wait_alu 0xfffe
	s_add_co_i32 s9, s3, 1
	s_cmp_ge_u32 s7, s8
	s_cselect_b32 s16, s9, s3
	s_mov_b32 s3, 0
	s_mul_i32 s7, s16, s8
	s_wait_alu 0xfffe
	s_mov_b32 s9, s3
	s_sub_co_i32 s8, ttmp9, s7
	s_delay_alu instid0(SALU_CYCLE_1) | instskip(NEXT) | instid1(VALU_DEP_1)
	v_cmp_lt_u64_e64 s7, s[8:9], s[20:21]
	s_and_b32 vcc_lo, exec_lo, s7
	s_cbranch_vccnz .LBB0_2
; %bb.1:
	v_rcp_iflag_f32_e32 v2, v1
	s_sub_co_i32 s9, 0, s20
	s_delay_alu instid0(TRANS32_DEP_1) | instskip(NEXT) | instid1(VALU_DEP_1)
	v_mul_f32_e32 v2, 0x4f7ffffe, v2
	v_cvt_u32_f32_e32 v2, v2
	s_delay_alu instid0(VALU_DEP_1) | instskip(SKIP_1) | instid1(VALU_DEP_1)
	v_readfirstlane_b32 s7, v2
	s_wait_alu 0xfffe
	s_mul_i32 s9, s9, s7
	s_wait_alu 0xfffe
	s_mul_hi_u32 s9, s7, s9
	s_wait_alu 0xfffe
	s_add_co_i32 s7, s7, s9
	s_delay_alu instid0(SALU_CYCLE_1) | instskip(NEXT) | instid1(SALU_CYCLE_1)
	s_mul_hi_u32 s7, s8, s7
	s_mul_i32 s9, s7, s20
	s_wait_alu 0xfffe
	s_sub_co_i32 s8, s8, s9
	s_add_co_i32 s9, s7, 1
	s_wait_alu 0xfffe
	s_sub_co_i32 s10, s8, s20
	s_cmp_ge_u32 s8, s20
	s_cselect_b32 s7, s9, s7
	s_cselect_b32 s8, s10, s8
	s_add_co_i32 s9, s7, 1
	s_wait_alu 0xfffe
	s_cmp_ge_u32 s8, s20
	s_cselect_b32 s30, s9, s7
.LBB0_2:
	s_load_b128 s[8:11], s[0:1], 0x58
	v_cmp_lt_u64_e64 s3, s[2:3], s[20:21]
	s_delay_alu instid0(VALU_DEP_1)
	s_and_b32 vcc_lo, exec_lo, s3
	s_cbranch_vccnz .LBB0_4
; %bb.3:
	v_rcp_iflag_f32_e32 v1, v1
	s_sub_co_i32 s7, 0, s20
	s_delay_alu instid0(TRANS32_DEP_1) | instskip(NEXT) | instid1(VALU_DEP_1)
	v_mul_f32_e32 v1, 0x4f7ffffe, v1
	v_cvt_u32_f32_e32 v1, v1
	s_delay_alu instid0(VALU_DEP_1) | instskip(NEXT) | instid1(VALU_DEP_1)
	v_readfirstlane_b32 s3, v1
	s_mul_i32 s7, s7, s3
	s_delay_alu instid0(SALU_CYCLE_1) | instskip(NEXT) | instid1(SALU_CYCLE_1)
	s_mul_hi_u32 s7, s3, s7
	s_add_co_i32 s3, s3, s7
	s_wait_alu 0xfffe
	s_mul_hi_u32 s3, s2, s3
	s_wait_alu 0xfffe
	s_mul_i32 s3, s3, s20
	s_wait_alu 0xfffe
	s_sub_co_i32 s2, s2, s3
	s_wait_alu 0xfffe
	s_sub_co_i32 s3, s2, s20
	s_cmp_ge_u32 s2, s20
	s_wait_alu 0xfffe
	s_cselect_b32 s2, s3, s2
	s_wait_alu 0xfffe
	s_sub_co_i32 s3, s2, s20
	s_cmp_ge_u32 s2, s20
	s_wait_alu 0xfffe
	s_cselect_b32 s2, s3, s2
.LBB0_4:
	s_load_b64 s[0:1], s[0:1], 0x8
	s_mul_i32 s7, s2, s14
	v_mad_co_u64_u32 v[1:2], null, s12, v0, 0
	s_lshl_b32 s3, s30, 3
	v_lshl_add_u32 v37, v0, 7, 0
	s_wait_alu 0xfffe
	s_mul_i32 s12, s3, s28
	v_bfe_u32 v60, v0, 3, 2
	s_delay_alu instid0(VALU_DEP_3) | instskip(NEXT) | instid1(VALU_DEP_1)
	v_mad_co_u64_u32 v[2:3], null, s13, v0, v[2:3]
	v_lshlrev_b64_e32 v[1:2], 4, v[1:2]
	s_wait_kmcnt 0x0
	s_lshl_b64 s[14:15], s[0:1], 3
	s_delay_alu instid0(SALU_CYCLE_1)
	s_add_nc_u64 s[0:1], s[18:19], s[14:15]
	s_load_b64 s[18:19], s[0:1], 0x0
	s_mov_b32 s1, 0
	s_add_co_i32 s0, s7, s12
	s_mov_b32 s17, s1
	s_lshl_b64 s[20:21], s[0:1], 4
	s_mov_b32 s29, s1
	s_add_co_i32 s0, s28, s28
	s_lshl_b64 s[36:37], s[28:29], 4
	s_lshl_b64 s[12:13], s[0:1], 4
	s_add_co_i32 s0, s0, s28
	s_lshl_b32 s7, s6, 6
	s_lshl_b64 s[30:31], s[0:1], 4
	s_add_co_i32 s0, s0, s28
	s_delay_alu instid0(SALU_CYCLE_1) | instskip(SKIP_1) | instid1(SALU_CYCLE_1)
	s_lshl_b64 s[34:35], s[0:1], 4
	s_add_co_i32 s0, s0, s28
	s_lshl_b64 s[38:39], s[0:1], 4
	s_add_co_i32 s0, s0, s28
	s_wait_kmcnt 0x0
	s_mul_u64 s[18:19], s[18:19], s[16:17]
	s_delay_alu instid0(SALU_CYCLE_1) | instskip(NEXT) | instid1(SALU_CYCLE_1)
	s_lshl_b64 s[18:19], s[18:19], 4
	s_add_nc_u64 s[8:9], s[8:9], s[18:19]
	s_lshl_b64 s[18:19], s[0:1], 4
	s_wait_alu 0xfffe
	s_add_nc_u64 s[8:9], s[8:9], s[20:21]
	s_add_co_i32 s0, s0, s28
	s_wait_alu 0xfffe
	v_add_co_u32 v1, vcc_lo, s8, v1
	v_add_co_ci_u32_e32 v2, vcc_lo, s9, v2, vcc_lo
	s_lshl_b64 s[8:9], s[0:1], 4
	s_delay_alu instid0(VALU_DEP_2) | instskip(SKIP_1) | instid1(VALU_DEP_2)
	v_add_co_u32 v3, vcc_lo, v1, s36
	s_wait_alu 0xfffd
	v_add_co_ci_u32_e32 v4, vcc_lo, s37, v2, vcc_lo
	v_add_co_u32 v13, vcc_lo, v1, s12
	s_wait_alu 0xfffd
	v_add_co_ci_u32_e32 v14, vcc_lo, s13, v2, vcc_lo
	;; [unrolled: 3-line block ×5, first 2 shown]
	s_clause 0x1
	global_load_b128 v[5:8], v[1:2], off
	global_load_b128 v[9:12], v[3:4], off
	v_add_co_u32 v3, vcc_lo, v1, s18
	s_wait_alu 0xfffd
	v_add_co_ci_u32_e32 v4, vcc_lo, s19, v2, vcc_lo
	s_wait_alu 0xfffe
	v_add_co_u32 v1, vcc_lo, v1, s8
	s_wait_alu 0xfffd
	v_add_co_ci_u32_e32 v2, vcc_lo, s9, v2, vcc_lo
	s_clause 0x5
	global_load_b128 v[13:16], v[13:14], off
	global_load_b128 v[17:20], v[17:18], off
	;; [unrolled: 1-line block ×6, first 2 shown]
	v_lshrrev_b32_e32 v2, 3, v0
	v_and_b32_e32 v1, 7, v0
	s_add_nc_u64 s[8:9], s[26:27], s[14:15]
	v_bfe_u32 v0, v0, 3, 4
	s_load_b64 s[8:9], s[8:9], 0x0
	v_lshlrev_b32_e32 v3, 7, v2
	v_lshlrev_b32_e32 v4, 4, v1
	s_mul_i32 s0, s2, s22
	s_wait_loadcnt 0x7
	ds_store_b128 v37, v[5:8]
	s_wait_loadcnt 0x6
	ds_store_b128 v37, v[9:12] offset:16
	s_wait_loadcnt 0x5
	ds_store_b128 v37, v[13:16] offset:32
	;; [unrolled: 2-line block ×7, first 2 shown]
	v_add3_u32 v3, 0, v3, v4
	global_wb scope:SCOPE_SE
	s_wait_dscnt 0x0
	s_wait_kmcnt 0x0
	s_barrier_signal -1
	s_barrier_wait -1
	global_inv scope:SCOPE_SE
	ds_load_b128 v[5:8], v3 offset:16384
	ds_load_b128 v[9:12], v3
	ds_load_b128 v[13:16], v3 offset:8192
	ds_load_b128 v[17:20], v3 offset:24576
	;; [unrolled: 1-line block ×6, first 2 shown]
	global_wb scope:SCOPE_SE
	s_wait_dscnt 0x0
	s_barrier_signal -1
	s_barrier_wait -1
	global_inv scope:SCOPE_SE
	s_lshl_b64 s[0:1], s[0:1], 4
	v_add_f64_e64 v[37:38], v[9:10], -v[5:6]
	v_add_f64_e64 v[39:40], v[11:12], -v[7:8]
	;; [unrolled: 1-line block ×8, first 2 shown]
	v_fma_f64 v[33:34], v[9:10], 2.0, -v[37:38]
	v_fma_f64 v[35:36], v[11:12], 2.0, -v[39:40]
	;; [unrolled: 1-line block ×8, first 2 shown]
	v_add_f64_e64 v[8:9], v[39:40], -v[17:18]
	v_add_f64_e32 v[6:7], v[37:38], v[5:6]
	v_add_f64_e32 v[10:11], v[41:42], v[19:20]
	v_or_b32_e32 v5, 32, v2
	s_delay_alu instid0(VALU_DEP_1)
	v_lshlrev_b32_e32 v62, 2, v5
	v_add_f64_e64 v[14:15], v[33:34], -v[12:13]
	v_add_f64_e64 v[16:17], v[35:36], -v[27:28]
	;; [unrolled: 1-line block ×5, first 2 shown]
	v_fma_f64 v[24:25], v[39:40], 2.0, -v[8:9]
	v_fma_f64 v[22:23], v[37:38], 2.0, -v[6:7]
	;; [unrolled: 1-line block ×3, first 2 shown]
	v_mul_u32_u24_e32 v38, 3, v60
	v_lshlrev_b32_e32 v39, 9, v5
	v_mad_u32_u24 v40, 0x180, v2, v3
	s_delay_alu instid0(VALU_DEP_3) | instskip(NEXT) | instid1(VALU_DEP_3)
	v_lshlrev_b32_e32 v38, 4, v38
	v_add3_u32 v61, 0, v39, v4
	v_fma_f64 v[30:31], v[33:34], 2.0, -v[14:15]
	v_fma_f64 v[32:33], v[35:36], 2.0, -v[16:17]
	;; [unrolled: 1-line block ×5, first 2 shown]
	ds_store_b128 v40, v[14:17] offset:256
	ds_store_b128 v40, v[6:9] offset:384
	ds_store_b128 v40, v[30:33]
	ds_store_b128 v40, v[22:25] offset:128
	ds_store_b128 v61, v[34:37]
	ds_store_b128 v61, v[26:29] offset:128
	ds_store_b128 v61, v[18:21] offset:256
	;; [unrolled: 1-line block ×3, first 2 shown]
	global_wb scope:SCOPE_SE
	s_wait_dscnt 0x0
	s_barrier_signal -1
	s_barrier_wait -1
	global_inv scope:SCOPE_SE
	s_clause 0x2
	global_load_b128 v[6:9], v38, s[24:25]
	global_load_b128 v[10:13], v38, s[24:25] offset:16
	global_load_b128 v[14:17], v38, s[24:25] offset:32
	ds_load_b128 v[18:21], v3 offset:8192
	ds_load_b128 v[22:25], v3 offset:16384
	;; [unrolled: 1-line block ×6, first 2 shown]
	s_wait_loadcnt_dscnt 0x205
	v_mul_f64_e32 v[42:43], v[20:21], v[8:9]
	v_mul_f64_e32 v[44:45], v[18:19], v[8:9]
	s_wait_loadcnt_dscnt 0x104
	v_mul_f64_e32 v[46:47], v[24:25], v[12:13]
	v_mul_f64_e32 v[48:49], v[22:23], v[12:13]
	;; [unrolled: 3-line block ×3, first 2 shown]
	s_wait_dscnt 0x2
	v_mul_f64_e32 v[54:55], v[32:33], v[8:9]
	v_mul_f64_e32 v[8:9], v[30:31], v[8:9]
	s_wait_dscnt 0x1
	v_mul_f64_e32 v[56:57], v[36:37], v[12:13]
	v_mul_f64_e32 v[12:13], v[34:35], v[12:13]
	;; [unrolled: 3-line block ×3, first 2 shown]
	v_fma_f64 v[18:19], v[18:19], v[6:7], v[42:43]
	v_fma_f64 v[20:21], v[20:21], v[6:7], -v[44:45]
	v_fma_f64 v[22:23], v[22:23], v[10:11], v[46:47]
	v_fma_f64 v[24:25], v[24:25], v[10:11], -v[48:49]
	;; [unrolled: 2-line block ×6, first 2 shown]
	v_mad_i32_i24 v6, 0xfffffe80, v5, v61
	ds_load_b128 v[7:10], v3
	ds_load_b128 v[11:14], v6
	v_lshlrev_b32_e32 v61, 2, v2
	global_wb scope:SCOPE_SE
	s_wait_dscnt 0x0
	s_barrier_signal -1
	s_barrier_wait -1
	global_inv scope:SCOPE_SE
	v_add_f64_e64 v[40:41], v[7:8], -v[22:23]
	v_add_f64_e64 v[42:43], v[9:10], -v[24:25]
	;; [unrolled: 1-line block ×8, first 2 shown]
	v_fma_f64 v[36:37], v[7:8], 2.0, -v[40:41]
	v_fma_f64 v[38:39], v[9:10], 2.0, -v[42:43]
	;; [unrolled: 1-line block ×4, first 2 shown]
	v_add_f64_e32 v[7:8], v[40:41], v[24:25]
	v_add_f64_e64 v[9:10], v[42:43], -v[22:23]
	v_fma_f64 v[46:47], v[11:12], 2.0, -v[27:28]
	v_fma_f64 v[48:49], v[13:14], 2.0, -v[44:45]
	v_fma_f64 v[13:14], v[30:31], 2.0, -v[34:35]
	v_fma_f64 v[29:30], v[32:33], 2.0, -v[15:16]
	v_add_f64_e32 v[11:12], v[27:28], v[15:16]
	v_add_f64_e64 v[15:16], v[36:37], -v[17:18]
	v_add_f64_e64 v[17:18], v[38:39], -v[19:20]
	v_fma_f64 v[23:24], v[40:41], 2.0, -v[7:8]
	v_fma_f64 v[25:26], v[42:43], 2.0, -v[9:10]
	v_and_or_b32 v40, 0xf0, v62, v60
	v_mul_u32_u24_e32 v41, 3, v0
	v_add_f64_e64 v[19:20], v[46:47], -v[13:14]
	v_add_f64_e64 v[21:22], v[48:49], -v[29:30]
	v_add_f64_e64 v[13:14], v[44:45], -v[34:35]
	v_fma_f64 v[27:28], v[27:28], 2.0, -v[11:12]
	v_lshlrev_b32_e32 v40, 7, v40
	v_lshlrev_b32_e32 v41, 4, v41
	s_delay_alu instid0(VALU_DEP_2)
	v_add3_u32 v40, 0, v40, v4
	v_fma_f64 v[31:32], v[36:37], 2.0, -v[15:16]
	v_fma_f64 v[33:34], v[38:39], 2.0, -v[17:18]
	v_and_or_b32 v39, 0x70, v61, v60
	v_fma_f64 v[35:36], v[46:47], 2.0, -v[19:20]
	v_fma_f64 v[37:38], v[48:49], 2.0, -v[21:22]
	v_fma_f64 v[29:30], v[44:45], 2.0, -v[13:14]
	s_delay_alu instid0(VALU_DEP_4) | instskip(NEXT) | instid1(VALU_DEP_1)
	v_lshlrev_b32_e32 v39, 7, v39
	v_add3_u32 v39, 0, v39, v4
	ds_store_b128 v39, v[15:18] offset:1024
	ds_store_b128 v39, v[7:10] offset:1536
	ds_store_b128 v39, v[31:34]
	ds_store_b128 v39, v[23:26] offset:512
	ds_store_b128 v40, v[35:38]
	ds_store_b128 v40, v[27:30] offset:512
	ds_store_b128 v40, v[19:22] offset:1024
	;; [unrolled: 1-line block ×3, first 2 shown]
	global_wb scope:SCOPE_SE
	s_wait_dscnt 0x0
	s_barrier_signal -1
	s_barrier_wait -1
	global_inv scope:SCOPE_SE
	s_clause 0x2
	global_load_b128 v[7:10], v41, s[24:25] offset:192
	global_load_b128 v[11:14], v41, s[24:25] offset:208
	;; [unrolled: 1-line block ×3, first 2 shown]
	ds_load_b128 v[19:22], v3 offset:8192
	ds_load_b128 v[23:26], v3 offset:16384
	;; [unrolled: 1-line block ×6, first 2 shown]
	s_wait_loadcnt_dscnt 0x205
	v_mul_f64_e32 v[43:44], v[21:22], v[9:10]
	v_mul_f64_e32 v[45:46], v[19:20], v[9:10]
	s_wait_loadcnt_dscnt 0x104
	v_mul_f64_e32 v[47:48], v[25:26], v[13:14]
	v_mul_f64_e32 v[49:50], v[23:24], v[13:14]
	;; [unrolled: 3-line block ×3, first 2 shown]
	s_wait_dscnt 0x2
	v_mul_f64_e32 v[55:56], v[33:34], v[9:10]
	v_mul_f64_e32 v[9:10], v[31:32], v[9:10]
	s_wait_dscnt 0x1
	v_mul_f64_e32 v[57:58], v[37:38], v[13:14]
	v_mul_f64_e32 v[13:14], v[35:36], v[13:14]
	;; [unrolled: 3-line block ×3, first 2 shown]
	v_fma_f64 v[19:20], v[19:20], v[7:8], v[43:44]
	v_fma_f64 v[21:22], v[21:22], v[7:8], -v[45:46]
	v_fma_f64 v[23:24], v[23:24], v[11:12], v[47:48]
	v_fma_f64 v[25:26], v[25:26], v[11:12], -v[49:50]
	v_fma_f64 v[27:28], v[27:28], v[15:16], v[51:52]
	v_fma_f64 v[29:30], v[29:30], v[15:16], -v[53:54]
	v_fma_f64 v[31:32], v[31:32], v[7:8], v[55:56]
	v_fma_f64 v[33:34], v[33:34], v[7:8], -v[9:10]
	v_fma_f64 v[35:36], v[35:36], v[11:12], v[57:58]
	v_fma_f64 v[37:38], v[37:38], v[11:12], -v[13:14]
	v_fma_f64 v[39:40], v[39:40], v[15:16], v[59:60]
	v_fma_f64 v[15:16], v[41:42], v[15:16], -v[17:18]
	ds_load_b128 v[7:10], v3
	ds_load_b128 v[11:14], v6
	global_wb scope:SCOPE_SE
	s_wait_dscnt 0x0
	s_barrier_signal -1
	s_barrier_wait -1
	global_inv scope:SCOPE_SE
	v_add_f64_e64 v[23:24], v[7:8], -v[23:24]
	v_add_f64_e64 v[25:26], v[9:10], -v[25:26]
	;; [unrolled: 1-line block ×8, first 2 shown]
	v_fma_f64 v[37:38], v[7:8], 2.0, -v[23:24]
	v_fma_f64 v[39:40], v[9:10], 2.0, -v[25:26]
	;; [unrolled: 1-line block ×4, first 2 shown]
	v_add_f64_e64 v[9:10], v[25:26], -v[17:18]
	v_add_f64_e32 v[7:8], v[23:24], v[27:28]
	v_fma_f64 v[43:44], v[11:12], 2.0, -v[29:30]
	v_fma_f64 v[45:46], v[13:14], 2.0, -v[41:42]
	;; [unrolled: 1-line block ×4, first 2 shown]
	v_add_f64_e32 v[11:12], v[29:30], v[15:16]
	v_add_f64_e64 v[15:16], v[37:38], -v[19:20]
	v_add_f64_e64 v[17:18], v[39:40], -v[21:22]
	v_fma_f64 v[25:26], v[25:26], 2.0, -v[9:10]
	v_fma_f64 v[23:24], v[23:24], 2.0, -v[7:8]
	v_add_f64_e64 v[19:20], v[43:44], -v[13:14]
	v_add_f64_e64 v[21:22], v[45:46], -v[31:32]
	;; [unrolled: 1-line block ×3, first 2 shown]
	v_fma_f64 v[27:28], v[29:30], 2.0, -v[11:12]
	v_fma_f64 v[31:32], v[37:38], 2.0, -v[15:16]
	;; [unrolled: 1-line block ×3, first 2 shown]
	v_and_or_b32 v39, v61, 64, v0
	v_and_or_b32 v0, 0xc0, v62, v0
	v_mul_u32_u24_e32 v40, 3, v2
	v_fma_f64 v[35:36], v[43:44], 2.0, -v[19:20]
	v_fma_f64 v[37:38], v[45:46], 2.0, -v[21:22]
	;; [unrolled: 1-line block ×3, first 2 shown]
	v_lshlrev_b32_e32 v39, 7, v39
	v_lshlrev_b32_e32 v0, 7, v0
	;; [unrolled: 1-line block ×3, first 2 shown]
	v_mul_u32_u24_e32 v41, 3, v5
	s_delay_alu instid0(VALU_DEP_4) | instskip(NEXT) | instid1(VALU_DEP_4)
	v_add3_u32 v39, 0, v39, v4
	v_add3_u32 v0, 0, v0, v4
	ds_store_b128 v39, v[15:18] offset:4096
	ds_store_b128 v39, v[7:10] offset:6144
	ds_store_b128 v39, v[31:34]
	ds_store_b128 v39, v[23:26] offset:2048
	ds_store_b128 v0, v[35:38]
	ds_store_b128 v0, v[27:30] offset:2048
	ds_store_b128 v0, v[19:22] offset:4096
	;; [unrolled: 1-line block ×3, first 2 shown]
	global_wb scope:SCOPE_SE
	s_wait_dscnt 0x0
	s_barrier_signal -1
	s_barrier_wait -1
	global_inv scope:SCOPE_SE
	global_load_b128 v[7:10], v40, s[24:25] offset:960
	v_lshlrev_b32_e32 v0, 4, v41
	s_clause 0x4
	global_load_b128 v[11:14], v40, s[24:25] offset:976
	global_load_b128 v[15:18], v40, s[24:25] offset:992
	;; [unrolled: 1-line block ×5, first 2 shown]
	ds_load_b128 v[31:34], v3 offset:8192
	ds_load_b128 v[35:38], v3 offset:16384
	;; [unrolled: 1-line block ×6, first 2 shown]
	s_wait_loadcnt_dscnt 0x404
	v_mul_f64_e32 v[57:58], v[37:38], v[13:14]
	v_mul_f64_e32 v[55:56], v[33:34], v[9:10]
	;; [unrolled: 1-line block ×4, first 2 shown]
	s_wait_loadcnt_dscnt 0x303
	v_mul_f64_e32 v[59:60], v[41:42], v[17:18]
	v_mul_f64_e32 v[17:18], v[39:40], v[17:18]
	s_wait_loadcnt_dscnt 0x202
	v_mul_f64_e32 v[61:62], v[45:46], v[21:22]
	v_mul_f64_e32 v[21:22], v[43:44], v[21:22]
	;; [unrolled: 3-line block ×4, first 2 shown]
	v_fma_f64 v[35:36], v[35:36], v[11:12], v[57:58]
	v_fma_f64 v[31:32], v[31:32], v[7:8], v[55:56]
	v_fma_f64 v[33:34], v[33:34], v[7:8], -v[9:10]
	v_fma_f64 v[37:38], v[37:38], v[11:12], -v[13:14]
	v_fma_f64 v[39:40], v[39:40], v[15:16], v[59:60]
	v_fma_f64 v[15:16], v[41:42], v[15:16], -v[17:18]
	v_fma_f64 v[17:18], v[43:44], v[19:20], v[61:62]
	;; [unrolled: 2-line block ×4, first 2 shown]
	v_fma_f64 v[27:28], v[53:54], v[27:28], -v[29:30]
	ds_load_b128 v[7:10], v3
	ds_load_b128 v[11:14], v6
	s_wait_dscnt 0x1
	v_add_f64_e64 v[29:30], v[7:8], -v[35:36]
	v_add_f64_e64 v[35:36], v[9:10], -v[37:38]
	v_add_f64_e64 v[37:38], v[31:32], -v[39:40]
	v_add_f64_e64 v[3:4], v[33:34], -v[15:16]
	s_wait_dscnt 0x0
	v_add_f64_e64 v[39:40], v[11:12], -v[21:22]
	v_add_f64_e64 v[41:42], v[13:14], -v[23:24]
	;; [unrolled: 1-line block ×4, first 2 shown]
	v_fma_f64 v[23:24], v[7:8], 2.0, -v[29:30]
	v_fma_f64 v[25:26], v[9:10], 2.0, -v[35:36]
	;; [unrolled: 1-line block ×8, first 2 shown]
	v_mul_lo_u32 v19, v2, s6
	v_mov_b32_e32 v20, 0
	v_or_b32_e32 v51, s3, v1
	v_add_f64_e32 v[0:1], v[29:30], v[3:4]
	v_add_f64_e64 v[2:3], v[35:36], -v[37:38]
	s_mul_u64 s[2:3], s[8:9], s[16:17]
	s_delay_alu instid0(VALU_DEP_3)
	v_mad_co_u64_u32 v[47:48], null, s4, v51, 0
	v_lshlrev_b64_e32 v[33:34], 4, v[19:20]
	v_add_nc_u32_e32 v19, s7, v19
	s_wait_alu 0xfffe
	s_lshl_b64 s[2:3], s[2:3], 4
	s_wait_alu 0xfffe
	s_add_nc_u64 s[2:3], s[10:11], s[2:3]
	v_lshlrev_b64_e32 v[43:44], 4, v[19:20]
	v_add_nc_u32_e32 v19, s7, v19
	s_wait_alu 0xfffe
	s_add_nc_u64 s[0:1], s[2:3], s[0:1]
	s_delay_alu instid0(VALU_DEP_1) | instskip(SKIP_1) | instid1(VALU_DEP_1)
	v_lshlrev_b64_e32 v[45:46], 4, v[19:20]
	v_add_nc_u32_e32 v19, s7, v19
	v_lshlrev_b64_e32 v[49:50], 4, v[19:20]
	v_mul_lo_u32 v19, v5, s6
	v_add_f64_e64 v[4:5], v[23:24], -v[6:7]
	v_add_f64_e64 v[6:7], v[25:26], -v[8:9]
	v_add_f64_e32 v[8:9], v[39:40], v[15:16]
	v_mov_b32_e32 v16, v48
	v_add_f64_e64 v[12:13], v[27:28], -v[10:11]
	v_add_f64_e64 v[14:15], v[31:32], -v[17:18]
	;; [unrolled: 1-line block ×3, first 2 shown]
	s_delay_alu instid0(VALU_DEP_4) | instskip(SKIP_1) | instid1(VALU_DEP_2)
	v_mad_co_u64_u32 v[16:17], null, s5, v51, v[16:17]
	v_lshlrev_b64_e32 v[37:38], 4, v[19:20]
	v_dual_mov_b32 v48, v16 :: v_dual_add_nc_u32 v19, s7, v19
	s_delay_alu instid0(VALU_DEP_1) | instskip(SKIP_1) | instid1(VALU_DEP_3)
	v_lshlrev_b64_e32 v[51:52], 4, v[19:20]
	v_add_nc_u32_e32 v19, s7, v19
	v_lshlrev_b64_e32 v[16:17], 4, v[47:48]
	s_delay_alu instid0(VALU_DEP_2) | instskip(SKIP_1) | instid1(VALU_DEP_3)
	v_lshlrev_b64_e32 v[53:54], 4, v[19:20]
	v_add_nc_u32_e32 v19, s7, v19
	v_add_co_u32 v55, vcc_lo, s0, v16
	s_delay_alu instid0(VALU_DEP_2)
	v_lshlrev_b64_e32 v[47:48], 4, v[19:20]
	s_wait_alu 0xfffd
	v_add_co_ci_u32_e32 v56, vcc_lo, s1, v17, vcc_lo
	v_fma_f64 v[16:17], v[29:30], 2.0, -v[0:1]
	v_fma_f64 v[18:19], v[35:36], 2.0, -v[2:3]
	;; [unrolled: 1-line block ×8, first 2 shown]
	v_add_co_u32 v32, vcc_lo, v55, v33
	s_wait_alu 0xfffd
	v_add_co_ci_u32_e32 v33, vcc_lo, v56, v34, vcc_lo
	v_add_co_u32 v34, vcc_lo, v55, v43
	s_wait_alu 0xfffd
	v_add_co_ci_u32_e32 v35, vcc_lo, v56, v44, vcc_lo
	;; [unrolled: 3-line block ×8, first 2 shown]
	s_clause 0x7
	global_store_b128 v[32:33], v[20:23], off
	global_store_b128 v[34:35], v[16:19], off
	;; [unrolled: 1-line block ×8, first 2 shown]
	s_nop 0
	s_sendmsg sendmsg(MSG_DEALLOC_VGPRS)
	s_endpgm
	.section	.rodata,"a",@progbits
	.p2align	6, 0x0
	.amdhsa_kernel fft_rtc_back_len256_factors_4_4_4_4_wgs_256_tpt_32_dp_op_CI_CI_sbrc_xy_z_aligned_dirReg
		.amdhsa_group_segment_fixed_size 0
		.amdhsa_private_segment_fixed_size 0
		.amdhsa_kernarg_size 104
		.amdhsa_user_sgpr_count 2
		.amdhsa_user_sgpr_dispatch_ptr 0
		.amdhsa_user_sgpr_queue_ptr 0
		.amdhsa_user_sgpr_kernarg_segment_ptr 1
		.amdhsa_user_sgpr_dispatch_id 0
		.amdhsa_user_sgpr_private_segment_size 0
		.amdhsa_wavefront_size32 1
		.amdhsa_uses_dynamic_stack 0
		.amdhsa_enable_private_segment 0
		.amdhsa_system_sgpr_workgroup_id_x 1
		.amdhsa_system_sgpr_workgroup_id_y 0
		.amdhsa_system_sgpr_workgroup_id_z 0
		.amdhsa_system_sgpr_workgroup_info 0
		.amdhsa_system_vgpr_workitem_id 0
		.amdhsa_next_free_vgpr 67
		.amdhsa_next_free_sgpr 40
		.amdhsa_reserve_vcc 1
		.amdhsa_float_round_mode_32 0
		.amdhsa_float_round_mode_16_64 0
		.amdhsa_float_denorm_mode_32 3
		.amdhsa_float_denorm_mode_16_64 3
		.amdhsa_fp16_overflow 0
		.amdhsa_workgroup_processor_mode 1
		.amdhsa_memory_ordered 1
		.amdhsa_forward_progress 0
		.amdhsa_round_robin_scheduling 0
		.amdhsa_exception_fp_ieee_invalid_op 0
		.amdhsa_exception_fp_denorm_src 0
		.amdhsa_exception_fp_ieee_div_zero 0
		.amdhsa_exception_fp_ieee_overflow 0
		.amdhsa_exception_fp_ieee_underflow 0
		.amdhsa_exception_fp_ieee_inexact 0
		.amdhsa_exception_int_div_zero 0
	.end_amdhsa_kernel
	.text
.Lfunc_end0:
	.size	fft_rtc_back_len256_factors_4_4_4_4_wgs_256_tpt_32_dp_op_CI_CI_sbrc_xy_z_aligned_dirReg, .Lfunc_end0-fft_rtc_back_len256_factors_4_4_4_4_wgs_256_tpt_32_dp_op_CI_CI_sbrc_xy_z_aligned_dirReg
                                        ; -- End function
	.section	.AMDGPU.csdata,"",@progbits
; Kernel info:
; codeLenInByte = 4092
; NumSgprs: 42
; NumVgprs: 67
; ScratchSize: 0
; MemoryBound: 0
; FloatMode: 240
; IeeeMode: 1
; LDSByteSize: 0 bytes/workgroup (compile time only)
; SGPRBlocks: 5
; VGPRBlocks: 8
; NumSGPRsForWavesPerEU: 42
; NumVGPRsForWavesPerEU: 67
; Occupancy: 16
; WaveLimiterHint : 1
; COMPUTE_PGM_RSRC2:SCRATCH_EN: 0
; COMPUTE_PGM_RSRC2:USER_SGPR: 2
; COMPUTE_PGM_RSRC2:TRAP_HANDLER: 0
; COMPUTE_PGM_RSRC2:TGID_X_EN: 1
; COMPUTE_PGM_RSRC2:TGID_Y_EN: 0
; COMPUTE_PGM_RSRC2:TGID_Z_EN: 0
; COMPUTE_PGM_RSRC2:TIDIG_COMP_CNT: 0
	.text
	.p2alignl 7, 3214868480
	.fill 96, 4, 3214868480
	.type	__hip_cuid_be06323f2897b3b0,@object ; @__hip_cuid_be06323f2897b3b0
	.section	.bss,"aw",@nobits
	.globl	__hip_cuid_be06323f2897b3b0
__hip_cuid_be06323f2897b3b0:
	.byte	0                               ; 0x0
	.size	__hip_cuid_be06323f2897b3b0, 1

	.ident	"AMD clang version 19.0.0git (https://github.com/RadeonOpenCompute/llvm-project roc-6.4.0 25133 c7fe45cf4b819c5991fe208aaa96edf142730f1d)"
	.section	".note.GNU-stack","",@progbits
	.addrsig
	.addrsig_sym __hip_cuid_be06323f2897b3b0
	.amdgpu_metadata
---
amdhsa.kernels:
  - .args:
      - .actual_access:  read_only
        .address_space:  global
        .offset:         0
        .size:           8
        .value_kind:     global_buffer
      - .offset:         8
        .size:           8
        .value_kind:     by_value
      - .actual_access:  read_only
        .address_space:  global
        .offset:         16
        .size:           8
        .value_kind:     global_buffer
      - .actual_access:  read_only
        .address_space:  global
        .offset:         24
        .size:           8
        .value_kind:     global_buffer
      - .actual_access:  read_only
        .address_space:  global
        .offset:         32
        .size:           8
        .value_kind:     global_buffer
      - .offset:         40
        .size:           8
        .value_kind:     by_value
      - .actual_access:  read_only
        .address_space:  global
        .offset:         48
        .size:           8
        .value_kind:     global_buffer
      - .actual_access:  read_only
        .address_space:  global
        .offset:         56
        .size:           8
        .value_kind:     global_buffer
      - .offset:         64
        .size:           4
        .value_kind:     by_value
      - .actual_access:  read_only
        .address_space:  global
        .offset:         72
        .size:           8
        .value_kind:     global_buffer
      - .actual_access:  read_only
        .address_space:  global
        .offset:         80
        .size:           8
        .value_kind:     global_buffer
      - .actual_access:  read_only
        .address_space:  global
        .offset:         88
        .size:           8
        .value_kind:     global_buffer
      - .actual_access:  write_only
        .address_space:  global
        .offset:         96
        .size:           8
        .value_kind:     global_buffer
    .group_segment_fixed_size: 0
    .kernarg_segment_align: 8
    .kernarg_segment_size: 104
    .language:       OpenCL C
    .language_version:
      - 2
      - 0
    .max_flat_workgroup_size: 256
    .name:           fft_rtc_back_len256_factors_4_4_4_4_wgs_256_tpt_32_dp_op_CI_CI_sbrc_xy_z_aligned_dirReg
    .private_segment_fixed_size: 0
    .sgpr_count:     42
    .sgpr_spill_count: 0
    .symbol:         fft_rtc_back_len256_factors_4_4_4_4_wgs_256_tpt_32_dp_op_CI_CI_sbrc_xy_z_aligned_dirReg.kd
    .uniform_work_group_size: 1
    .uses_dynamic_stack: false
    .vgpr_count:     67
    .vgpr_spill_count: 0
    .wavefront_size: 32
    .workgroup_processor_mode: 1
amdhsa.target:   amdgcn-amd-amdhsa--gfx1201
amdhsa.version:
  - 1
  - 2
...

	.end_amdgpu_metadata
